;; amdgpu-corpus repo=ROCm/rocFFT kind=compiled arch=gfx1030 opt=O3
	.text
	.amdgcn_target "amdgcn-amd-amdhsa--gfx1030"
	.amdhsa_code_object_version 6
	.protected	fft_rtc_fwd_len192_factors_6_4_4_2_wgs_256_tpt_32_dp_op_CI_CI_sbrc_z_xy_diag ; -- Begin function fft_rtc_fwd_len192_factors_6_4_4_2_wgs_256_tpt_32_dp_op_CI_CI_sbrc_z_xy_diag
	.globl	fft_rtc_fwd_len192_factors_6_4_4_2_wgs_256_tpt_32_dp_op_CI_CI_sbrc_z_xy_diag
	.p2align	8
	.type	fft_rtc_fwd_len192_factors_6_4_4_2_wgs_256_tpt_32_dp_op_CI_CI_sbrc_z_xy_diag,@function
fft_rtc_fwd_len192_factors_6_4_4_2_wgs_256_tpt_32_dp_op_CI_CI_sbrc_z_xy_diag: ; @fft_rtc_fwd_len192_factors_6_4_4_2_wgs_256_tpt_32_dp_op_CI_CI_sbrc_z_xy_diag
; %bb.0:
	s_load_dwordx8 s[8:15], s[4:5], 0x0
	v_or_b32_e32 v3, 0x100, v0
	v_mul_u32_u24_e32 v1, 0x156, v0
	v_or_b32_e32 v4, 0x200, v0
	v_or_b32_e32 v5, 0x300, v0
	;; [unrolled: 1-line block ×3, first 2 shown]
	v_mul_u32_u24_e32 v8, 0x156, v3
	v_or_b32_e32 v7, 0x500, v0
	v_lshrrev_b32_e32 v1, 16, v1
	v_mul_u32_u24_e32 v9, 0x2ab, v4
	v_mul_u32_u24_e32 v10, 0x2ab, v5
	v_lshrrev_b32_e32 v17, 16, v8
	v_mul_u32_u24_e32 v11, 0x2ab, v6
	v_mul_u32_u24_e32 v12, 0x2ab, v7
	v_mul_lo_u16 v14, 0xc0, v1
	v_lshrrev_b32_e32 v23, 17, v9
	v_lshrrev_b32_e32 v25, 17, v10
	v_lshrrev_b32_e32 v26, 17, v11
	v_lshrrev_b32_e32 v27, 17, v12
	v_sub_nc_u16 v9, v0, v14
	s_waitcnt lgkmcnt(0)
	s_load_dwordx4 s[0:3], s[12:13], 0x8
	s_clause 0x1
	s_load_dwordx2 s[12:13], s[4:5], 0x58
	s_load_dwordx2 s[16:17], s[4:5], 0x20
	v_mul_lo_u16 v10, 0xc0, v17
	v_mul_lo_u16 v11, 0xc0, v23
	;; [unrolled: 1-line block ×4, first 2 shown]
	v_and_b32_e32 v18, 0xffff, v9
	v_sub_nc_u16 v3, v3, v10
	v_sub_nc_u16 v4, v4, v11
	;; [unrolled: 1-line block ×4, first 2 shown]
	v_mov_b32_e32 v2, 0
	v_and_b32_e32 v19, 0xffff, v3
	v_and_b32_e32 v20, 0xffff, v4
	;; [unrolled: 1-line block ×4, first 2 shown]
	s_mov_b32 s7, 0
	v_and_b32_e32 v41, 31, v0
	s_waitcnt lgkmcnt(0)
	s_add_i32 s0, s0, -1
	v_lshlrev_b32_e32 v38, 4, v41
	s_lshr_b32 s0, s0, 3
	s_add_i32 s0, s0, 1
	s_mul_i32 s19, s0, s2
	s_load_dwordx4 s[0:3], s[14:15], 0x0
	v_cvt_f32_u32_e32 v13, s19
	s_sub_i32 s20, 0, s19
	s_waitcnt lgkmcnt(0)
	s_load_dword s3, s[14:15], 0x10
	v_add_nc_u32_e32 v37, 0, v38
	v_rcp_iflag_f32_e32 v8, v13
	v_mul_lo_u16 v13, 0xc0, v26
	v_sub_nc_u16 v6, v6, v13
	v_mul_f32_e32 v8, 0x4f7ffffe, v8
	v_and_b32_e32 v24, 0xffff, v6
	v_mad_u64_u32 v[3:4], null, s0, v18, 0
	v_cvt_u32_f32_e32 v8, v8
	v_mad_u64_u32 v[5:6], null, s0, v19, 0
	v_mad_u64_u32 v[9:10], null, s0, v21, 0
	v_readfirstlane_b32 s18, v8
	v_mad_u64_u32 v[7:8], null, s0, v20, 0
	v_mad_u64_u32 v[11:12], null, s0, v24, 0
	s_mul_i32 s20, s20, s18
	v_mad_u64_u32 v[13:14], null, s0, v28, 0
	s_mul_hi_u32 s20, s18, s20
	v_mul_lo_u32 v1, s2, v1
	s_add_i32 s18, s18, s20
	s_mul_hi_u32 s18, s6, s18
	s_mul_i32 s20, s18, s19
	s_add_i32 s21, s18, 1
	s_sub_i32 s20, s6, s20
	v_lshlrev_b64 v[15:16], 4, v[1:2]
	s_sub_i32 s22, s20, s19
	s_cmp_ge_u32 s20, s19
	v_mul_lo_u32 v1, s2, v17
	s_cselect_b32 s18, s21, s18
	s_cselect_b32 s20, s22, s20
	s_add_i32 s21, s18, 1
	s_cmp_ge_u32 s20, s19
	v_mad_u64_u32 v[17:18], null, s1, v18, v[4:5]
	s_cselect_b32 s18, s21, s18
	s_lshl_b64 s[10:11], s[10:11], 3
	s_mul_i32 s0, s18, s19
	v_mad_u64_u32 v[18:19], null, s1, v19, v[6:7]
	s_sub_i32 s0, s6, s0
	v_mad_u64_u32 v[19:20], null, s1, v20, v[8:9]
	s_and_b32 s6, s0, 31
	s_lshr_b32 s0, s0, 5
	s_lshl_b32 s20, s6, 3
	s_add_i32 s0, s0, s6
	v_mov_b32_e32 v4, v17
	s_mul_hi_u32 s19, s0, 0xaaaaaab
	v_mov_b32_e32 v6, v18
	s_lshr_b32 s19, s19, 3
	v_mov_b32_e32 v8, v19
	s_mulk_i32 s19, 0xc0
	v_lshlrev_b64 v[3:4], 4, v[3:4]
	s_sub_i32 s19, s0, s19
	s_mul_i32 s0, s20, s2
	s_waitcnt lgkmcnt(0)
	s_mul_i32 s3, s19, s3
	v_lshlrev_b64 v[5:6], 4, v[5:6]
	s_add_i32 s6, s3, s0
	s_add_u32 s14, s14, s10
	s_addc_u32 s15, s15, s11
	v_mad_u64_u32 v[20:21], null, s1, v21, v[10:11]
	s_load_dwordx2 s[14:15], s[14:15], 0x0
	v_lshlrev_b64 v[7:8], 4, v[7:8]
	v_lshlrev_b64 v[21:22], 4, v[1:2]
	v_mul_lo_u32 v1, s2, v23
	v_mad_u64_u32 v[23:24], null, s1, v24, v[12:13]
	v_mov_b32_e32 v10, v20
	v_lshlrev_b64 v[17:18], 4, v[1:2]
	v_mul_lo_u32 v1, s2, v25
	v_mov_b32_e32 v12, v23
	v_lshrrev_b32_e32 v25, 5, v0
	v_mul_u32_u24_e32 v36, 0xc0, v25
	s_waitcnt lgkmcnt(0)
	s_mul_i32 s0, s15, s18
	s_mul_hi_u32 s3, s14, s18
	s_mul_i32 s14, s14, s18
	s_add_i32 s15, s3, s0
	s_add_u32 s10, s16, s10
	s_addc_u32 s11, s17, s11
	s_lshl_b64 s[14:15], s[14:15], 4
	v_lshlrev_b32_e32 v40, 4, v36
	s_add_u32 s0, s12, s14
	s_addc_u32 s3, s13, s15
	s_lshl_b64 s[6:7], s[6:7], 4
	v_lshl_add_u32 v25, v0, 4, 0
	s_add_u32 s0, s0, s6
	s_addc_u32 s3, s3, s7
	v_add_co_u32 v3, vcc_lo, s0, v3
	v_add_co_ci_u32_e32 v4, vcc_lo, s3, v4, vcc_lo
	v_add_co_u32 v5, vcc_lo, s0, v5
	v_add_co_ci_u32_e32 v6, vcc_lo, s3, v6, vcc_lo
	;; [unrolled: 2-line block ×6, first 2 shown]
	v_lshlrev_b64 v[7:8], 4, v[9:10]
	v_mad_u64_u32 v[17:18], null, s1, v28, v[14:15]
	v_lshlrev_b64 v[9:10], 4, v[1:2]
	v_mul_lo_u32 v1, s2, v26
	v_add_nc_u32_e32 v35, v37, v40
	v_add_co_u32 v18, vcc_lo, s0, v7
	v_add_co_ci_u32_e32 v19, vcc_lo, s3, v8, vcc_lo
	v_mov_b32_e32 v14, v17
	v_add_co_u32 v17, vcc_lo, v18, v9
	v_lshlrev_b64 v[7:8], 4, v[11:12]
	v_add_co_ci_u32_e32 v18, vcc_lo, v19, v10, vcc_lo
	v_lshlrev_b64 v[9:10], 4, v[1:2]
	v_mul_lo_u32 v1, s2, v27
	v_lshlrev_b64 v[11:12], 4, v[13:14]
	v_add_co_u32 v7, vcc_lo, s0, v7
	v_add_co_ci_u32_e32 v8, vcc_lo, s3, v8, vcc_lo
	v_add3_u32 v39, 0, v40, v38
	v_add_co_u32 v11, vcc_lo, s0, v11
	v_lshlrev_b64 v[1:2], 4, v[1:2]
	v_add_co_ci_u32_e32 v12, vcc_lo, s3, v12, vcc_lo
	v_add_co_u32 v19, vcc_lo, v7, v9
	v_add_co_ci_u32_e32 v20, vcc_lo, v8, v10, vcc_lo
	v_add_co_u32 v21, vcc_lo, v11, v1
	v_add_co_ci_u32_e32 v22, vcc_lo, v12, v2, vcc_lo
	s_clause 0x5
	global_load_dwordx4 v[1:4], v[3:4], off
	global_load_dwordx4 v[5:8], v[5:6], off
	global_load_dwordx4 v[9:12], v[15:16], off
	global_load_dwordx4 v[13:16], v[17:18], off
	global_load_dwordx4 v[17:20], v[19:20], off
	global_load_dwordx4 v[21:24], v[21:22], off
	s_clause 0x2
	s_load_dwordx4 s[12:15], s[16:17], 0x0
	s_load_dwordx2 s[2:3], s[16:17], 0x10
	s_load_dwordx2 s[6:7], s[10:11], 0x0
	s_mov_b32 s0, 0xe8584caa
	s_mov_b32 s1, 0x3febb67a
	;; [unrolled: 1-line block ×4, first 2 shown]
	v_cmp_gt_u32_e32 vcc_lo, 16, v41
	s_waitcnt vmcnt(5)
	ds_write_b128 v25, v[1:4]
	s_waitcnt vmcnt(4)
	ds_write_b128 v25, v[5:8] offset:4096
	s_waitcnt vmcnt(3)
	ds_write_b128 v25, v[9:12] offset:8192
	;; [unrolled: 2-line block ×5, first 2 shown]
	s_waitcnt lgkmcnt(0)
	s_barrier
	buffer_gl0_inv
	ds_read_b128 v[1:4], v35 offset:1536
	ds_read_b128 v[5:8], v35 offset:2560
	;; [unrolled: 1-line block ×5, first 2 shown]
	s_waitcnt lgkmcnt(3)
	v_add_f64 v[21:22], v[3:4], v[7:8]
	v_add_f64 v[23:24], v[1:2], v[5:6]
	v_add_f64 v[25:26], v[3:4], -v[7:8]
	v_add_f64 v[27:28], v[1:2], -v[5:6]
	s_waitcnt lgkmcnt(0)
	v_add_f64 v[33:34], v[13:14], v[17:18]
	v_add_f64 v[42:43], v[15:16], v[19:20]
	;; [unrolled: 1-line block ×4, first 2 shown]
	v_fma_f64 v[29:30], v[21:22], -0.5, v[11:12]
	v_fma_f64 v[31:32], v[23:24], -0.5, v[9:10]
	ds_read_b128 v[21:24], v39
	v_add_f64 v[11:12], v[13:14], -v[17:18]
	s_waitcnt lgkmcnt(0)
	s_barrier
	v_add_f64 v[1:2], v[1:2], v[5:6]
	v_add_f64 v[3:4], v[3:4], v[7:8]
	buffer_gl0_inv
	v_fma_f64 v[44:45], v[27:28], s[10:11], v[29:30]
	v_fma_f64 v[46:47], v[25:26], s[10:11], v[31:32]
	;; [unrolled: 1-line block ×4, first 2 shown]
	v_add_f64 v[29:30], v[21:22], v[13:14]
	v_add_f64 v[31:32], v[15:16], -v[19:20]
	v_add_f64 v[15:16], v[23:24], v[15:16]
	v_fma_f64 v[9:10], v[33:34], -0.5, v[21:22]
	v_fma_f64 v[13:14], v[42:43], -0.5, v[23:24]
	v_mul_f64 v[21:22], v[44:45], s[0:1]
	v_mul_f64 v[23:24], v[46:47], -0.5
	v_mul_f64 v[33:34], v[25:26], s[10:11]
	v_mul_f64 v[42:43], v[27:28], -0.5
	v_add_f64 v[17:18], v[29:30], v[17:18]
	v_add_f64 v[15:16], v[15:16], v[19:20]
	v_fma_f64 v[29:30], v[31:32], s[0:1], v[9:10]
	v_fma_f64 v[9:10], v[31:32], s[10:11], v[9:10]
	;; [unrolled: 1-line block ×4, first 2 shown]
	v_fma_f64 v[25:26], v[25:26], 0.5, v[21:22]
	v_fma_f64 v[27:28], v[27:28], s[0:1], v[23:24]
	v_fma_f64 v[33:34], v[44:45], 0.5, v[33:34]
	v_fma_f64 v[42:43], v[46:47], s[10:11], v[42:43]
	v_add_f64 v[5:6], v[17:18], v[1:2]
	v_add_f64 v[13:14], v[17:18], -v[1:2]
	v_add_f64 v[7:8], v[15:16], v[3:4]
	v_add_f64 v[15:16], v[15:16], -v[3:4]
	v_add_f64 v[17:18], v[29:30], v[25:26]
	v_add_f64 v[21:22], v[9:10], v[27:28]
	;; [unrolled: 1-line block ×4, first 2 shown]
	v_add_f64 v[1:2], v[29:30], -v[25:26]
	v_add_f64 v[3:4], v[31:32], -v[33:34]
	;; [unrolled: 1-line block ×4, first 2 shown]
	v_mad_u32_u24 v25, 0x50, v41, v35
	ds_write_b128 v25, v[5:8]
	ds_write_b128 v25, v[13:16] offset:48
	ds_write_b128 v25, v[17:20] offset:16
	;; [unrolled: 1-line block ×5, first 2 shown]
	s_waitcnt lgkmcnt(0)
	s_barrier
	buffer_gl0_inv
	ds_read_b128 v[5:8], v39
	ds_read_b128 v[29:32], v35 offset:768
	ds_read_b128 v[25:28], v35 offset:1536
	ds_read_b128 v[13:16], v35 offset:2304
                                        ; implicit-def: $vgpr19_vgpr20
                                        ; implicit-def: $vgpr23_vgpr24
	s_and_saveexec_b32 s0, vcc_lo
	s_cbranch_execz .LBB0_2
; %bb.1:
	ds_read_b128 v[1:4], v35 offset:512
	ds_read_b128 v[9:12], v35 offset:1280
	;; [unrolled: 1-line block ×4, first 2 shown]
.LBB0_2:
	s_or_b32 exec_lo, exec_lo, s0
	v_mul_lo_u16 v33, v41, 43
	v_or_b32_e32 v42, 32, v41
	v_lshrrev_b16 v62, 8, v33
	v_mul_lo_u16 v43, v42, 43
	v_mul_lo_u16 v33, v62, 6
	v_sub_nc_u16 v63, v41, v33
	v_mov_b32_e32 v33, 4
	v_mul_lo_u16 v34, v63, 3
	v_lshlrev_b32_sdwa v34, v33, v34 dst_sel:DWORD dst_unused:UNUSED_PAD src0_sel:DWORD src1_sel:BYTE_0
	s_clause 0x2
	global_load_dwordx4 v[44:47], v34, s[8:9]
	global_load_dwordx4 v[48:51], v34, s[8:9] offset:16
	global_load_dwordx4 v[52:55], v34, s[8:9] offset:32
	v_lshrrev_b16 v34, 8, v43
	v_mul_lo_u16 v60, v34, 6
	s_waitcnt vmcnt(2) lgkmcnt(2)
	v_mul_f64 v[56:57], v[31:32], v[46:47]
	v_mul_f64 v[46:47], v[29:30], v[46:47]
	s_waitcnt vmcnt(1) lgkmcnt(1)
	v_mul_f64 v[58:59], v[27:28], v[50:51]
	v_mul_f64 v[50:51], v[25:26], v[50:51]
	v_fma_f64 v[56:57], v[29:30], v[44:45], -v[56:57]
	v_sub_nc_u16 v29, v42, v60
	v_fma_f64 v[30:31], v[31:32], v[44:45], v[46:47]
	s_waitcnt vmcnt(0) lgkmcnt(0)
	v_mul_f64 v[60:61], v[15:16], v[54:55]
	v_fma_f64 v[58:59], v[25:26], v[48:49], -v[58:59]
	v_fma_f64 v[48:49], v[27:28], v[48:49], v[50:51]
	v_mul_lo_u16 v32, v29, 3
	v_mul_f64 v[50:51], v[13:14], v[54:55]
	v_lshlrev_b32_sdwa v32, v33, v32 dst_sel:DWORD dst_unused:UNUSED_PAD src0_sel:DWORD src1_sel:BYTE_0
	s_clause 0x1
	global_load_dwordx4 v[44:47], v32, s[8:9]
	global_load_dwordx4 v[25:28], v32, s[8:9] offset:16
	v_fma_f64 v[54:55], v[13:14], v[52:53], -v[60:61]
	v_fma_f64 v[50:51], v[15:16], v[52:53], v[50:51]
	global_load_dwordx4 v[13:16], v32, s[8:9] offset:32
	s_waitcnt vmcnt(0)
	s_barrier
	buffer_gl0_inv
	v_mul_f64 v[52:53], v[11:12], v[46:47]
	v_mul_f64 v[46:47], v[9:10], v[46:47]
	;; [unrolled: 1-line block ×4, first 2 shown]
	v_fma_f64 v[9:10], v[9:10], v[44:45], -v[52:53]
	v_fma_f64 v[11:12], v[11:12], v[44:45], v[46:47]
	v_mul_f64 v[44:45], v[23:24], v[15:16]
	v_mul_f64 v[15:16], v[21:22], v[15:16]
	v_fma_f64 v[17:18], v[17:18], v[25:26], -v[60:61]
	v_fma_f64 v[19:20], v[19:20], v[25:26], v[27:28]
	v_add_f64 v[25:26], v[5:6], -v[58:59]
	v_add_f64 v[27:28], v[7:8], -v[48:49]
	v_fma_f64 v[21:22], v[21:22], v[13:14], -v[44:45]
	v_fma_f64 v[13:14], v[23:24], v[13:14], v[15:16]
	v_add_f64 v[15:16], v[56:57], -v[54:55]
	v_add_f64 v[23:24], v[30:31], -v[50:51]
	;; [unrolled: 1-line block ×4, first 2 shown]
	v_fma_f64 v[46:47], v[5:6], 2.0, -v[25:26]
	v_fma_f64 v[52:53], v[7:8], 2.0, -v[27:28]
	v_add_f64 v[44:45], v[9:10], -v[21:22]
	v_add_f64 v[13:14], v[11:12], -v[13:14]
	v_fma_f64 v[5:6], v[56:57], 2.0, -v[15:16]
	v_fma_f64 v[7:8], v[30:31], 2.0, -v[23:24]
	;; [unrolled: 1-line block ×4, first 2 shown]
	v_add_f64 v[17:18], v[25:26], -v[23:24]
	v_add_f64 v[19:20], v[27:28], v[15:16]
	v_mul_lo_u16 v30, v62, 24
	v_or_b32_e32 v30, v30, v63
	v_lshlrev_b32_sdwa v30, v33, v30 dst_sel:DWORD dst_unused:UNUSED_PAD src0_sel:DWORD src1_sel:BYTE_0
	v_fma_f64 v[9:10], v[9:10], 2.0, -v[44:45]
	v_fma_f64 v[11:12], v[11:12], 2.0, -v[13:14]
	v_add_f64 v[21:22], v[46:47], -v[5:6]
	v_add_f64 v[23:24], v[52:53], -v[7:8]
	;; [unrolled: 1-line block ×3, first 2 shown]
	v_add_f64 v[15:16], v[50:51], v[44:45]
	v_fma_f64 v[25:26], v[25:26], 2.0, -v[17:18]
	v_fma_f64 v[27:28], v[27:28], 2.0, -v[19:20]
	v_add3_u32 v30, 0, v30, v40
	v_add_f64 v[5:6], v[1:2], -v[9:10]
	v_add_f64 v[7:8], v[3:4], -v[11:12]
	v_fma_f64 v[44:45], v[46:47], 2.0, -v[21:22]
	v_fma_f64 v[46:47], v[52:53], 2.0, -v[23:24]
	;; [unrolled: 1-line block ×4, first 2 shown]
	ds_write_b128 v30, v[44:47]
	ds_write_b128 v30, v[25:28] offset:96
	ds_write_b128 v30, v[21:24] offset:192
	;; [unrolled: 1-line block ×3, first 2 shown]
	v_fma_f64 v[1:2], v[1:2], 2.0, -v[5:6]
	v_fma_f64 v[3:4], v[3:4], 2.0, -v[7:8]
	s_and_saveexec_b32 s0, vcc_lo
	s_cbranch_execz .LBB0_4
; %bb.3:
	v_mul_lo_u16 v17, v34, 24
	v_or_b32_e32 v17, v17, v29
	v_lshlrev_b32_sdwa v17, v33, v17 dst_sel:DWORD dst_unused:UNUSED_PAD src0_sel:DWORD src1_sel:BYTE_0
	v_add3_u32 v17, 0, v17, v40
	ds_write_b128 v17, v[1:4]
	ds_write_b128 v17, v[9:12] offset:96
	ds_write_b128 v17, v[5:8] offset:192
	;; [unrolled: 1-line block ×3, first 2 shown]
.LBB0_4:
	s_or_b32 exec_lo, exec_lo, s0
	s_waitcnt lgkmcnt(0)
	s_barrier
	buffer_gl0_inv
	ds_read_b128 v[17:20], v39
	ds_read_b128 v[29:32], v35 offset:768
	ds_read_b128 v[25:28], v35 offset:1536
	;; [unrolled: 1-line block ×3, first 2 shown]
	s_load_dwordx2 s[4:5], s[4:5], 0x60
	s_and_saveexec_b32 s0, vcc_lo
	s_cbranch_execz .LBB0_6
; %bb.5:
	ds_read_b128 v[1:4], v35 offset:512
	ds_read_b128 v[9:12], v35 offset:1280
	;; [unrolled: 1-line block ×4, first 2 shown]
.LBB0_6:
	s_or_b32 exec_lo, exec_lo, s0
	v_subrev_nc_u32_e32 v33, 24, v41
	v_cmp_gt_u32_e64 s0, 24, v41
	v_mov_b32_e32 v34, 0
	s_mov_b32 s1, 0
	v_cndmask_b32_e64 v62, v33, v41, s0
	v_mul_i32_i24_e32 v33, 3, v62
	v_lshlrev_b64 v[44:45], 4, v[33:34]
	v_add_co_u32 v52, s0, s8, v44
	v_add_co_ci_u32_e64 v53, s0, s9, v45, s0
	v_cmp_lt_u32_e64 s0, 23, v41
	s_clause 0x2
	global_load_dwordx4 v[44:47], v[52:53], off offset:288
	global_load_dwordx4 v[48:51], v[52:53], off offset:304
	;; [unrolled: 1-line block ×3, first 2 shown]
	s_waitcnt vmcnt(0) lgkmcnt(0)
	v_cndmask_b32_e64 v33, 0, 0x60, s0
	s_barrier
	buffer_gl0_inv
	v_or_b32_e32 v33, v33, v62
	v_lshlrev_b32_e32 v33, 4, v33
	v_add3_u32 v33, 0, v33, v40
	v_mul_f64 v[56:57], v[31:32], v[46:47]
	v_mul_f64 v[46:47], v[29:30], v[46:47]
	;; [unrolled: 1-line block ×6, first 2 shown]
	v_fma_f64 v[29:30], v[29:30], v[44:45], -v[56:57]
	v_fma_f64 v[31:32], v[31:32], v[44:45], v[46:47]
	v_fma_f64 v[25:26], v[25:26], v[48:49], -v[58:59]
	v_fma_f64 v[27:28], v[27:28], v[48:49], v[50:51]
	;; [unrolled: 2-line block ×3, first 2 shown]
	v_add_f64 v[25:26], v[17:18], -v[25:26]
	v_add_f64 v[27:28], v[19:20], -v[27:28]
	;; [unrolled: 1-line block ×4, first 2 shown]
	v_fma_f64 v[44:45], v[17:18], 2.0, -v[25:26]
	v_fma_f64 v[46:47], v[19:20], 2.0, -v[27:28]
	;; [unrolled: 1-line block ×4, first 2 shown]
	v_add_f64 v[17:18], v[25:26], -v[23:24]
	v_add_f64 v[19:20], v[27:28], v[21:22]
	v_add_f64 v[21:22], v[44:45], -v[29:30]
	v_add_f64 v[23:24], v[46:47], -v[31:32]
	v_fma_f64 v[25:26], v[25:26], 2.0, -v[17:18]
	v_fma_f64 v[27:28], v[27:28], 2.0, -v[19:20]
	;; [unrolled: 1-line block ×4, first 2 shown]
	ds_write_b128 v33, v[25:28] offset:384
	ds_write_b128 v33, v[21:24] offset:768
	ds_write_b128 v33, v[29:32]
	ds_write_b128 v33, v[17:20] offset:1152
	s_and_saveexec_b32 s0, vcc_lo
	s_cbranch_execz .LBB0_8
; %bb.7:
	v_lshrrev_b16 v17, 10, v43
	v_mov_b32_e32 v18, 3
	v_mul_lo_u16 v17, v17, 24
	v_sub_nc_u16 v33, v42, v17
	v_mul_u32_u24_sdwa v17, v33, v18 dst_sel:DWORD dst_unused:UNUSED_PAD src0_sel:BYTE_0 src1_sel:DWORD
	v_lshlrev_b32_e32 v25, 4, v17
	s_clause 0x2
	global_load_dwordx4 v[17:20], v25, s[8:9] offset:304
	global_load_dwordx4 v[21:24], v25, s[8:9] offset:288
	;; [unrolled: 1-line block ×3, first 2 shown]
	s_waitcnt vmcnt(2)
	v_mul_f64 v[29:30], v[5:6], v[19:20]
	s_waitcnt vmcnt(1)
	v_mul_f64 v[31:32], v[11:12], v[23:24]
	v_mul_f64 v[23:24], v[9:10], v[23:24]
	s_waitcnt vmcnt(0)
	v_mul_f64 v[41:42], v[13:14], v[27:28]
	v_mul_f64 v[19:20], v[7:8], v[19:20]
	;; [unrolled: 1-line block ×3, first 2 shown]
	v_fma_f64 v[7:8], v[7:8], v[17:18], v[29:30]
	v_fma_f64 v[9:10], v[9:10], v[21:22], -v[31:32]
	v_fma_f64 v[11:12], v[11:12], v[21:22], v[23:24]
	v_fma_f64 v[15:16], v[15:16], v[25:26], v[41:42]
	v_fma_f64 v[5:6], v[5:6], v[17:18], -v[19:20]
	v_fma_f64 v[13:14], v[13:14], v[25:26], -v[27:28]
	v_add_f64 v[17:18], v[3:4], -v[7:8]
	v_add_f64 v[7:8], v[11:12], -v[15:16]
	;; [unrolled: 1-line block ×4, first 2 shown]
	v_fma_f64 v[13:14], v[3:4], 2.0, -v[17:18]
	v_fma_f64 v[11:12], v[11:12], 2.0, -v[7:8]
	;; [unrolled: 1-line block ×4, first 2 shown]
	v_add_f64 v[3:4], v[17:18], v[5:6]
	v_add_f64 v[1:2], v[15:16], -v[7:8]
	v_add_f64 v[7:8], v[13:14], -v[11:12]
	;; [unrolled: 1-line block ×3, first 2 shown]
	v_fma_f64 v[11:12], v[17:18], 2.0, -v[3:4]
	v_fma_f64 v[9:10], v[15:16], 2.0, -v[1:2]
	v_mov_b32_e32 v17, 4
	v_lshlrev_b32_sdwa v17, v17, v33 dst_sel:DWORD dst_unused:UNUSED_PAD src0_sel:DWORD src1_sel:BYTE_0
	v_add3_u32 v17, 0, v17, v40
	v_fma_f64 v[15:16], v[13:14], 2.0, -v[7:8]
	v_fma_f64 v[13:14], v[19:20], 2.0, -v[5:6]
	ds_write_b128 v17, v[9:12] offset:1920
	ds_write_b128 v17, v[5:8] offset:2304
	;; [unrolled: 1-line block ×4, first 2 shown]
.LBB0_8:
	s_or_b32 exec_lo, exec_lo, s0
	v_add_co_u32 v1, s0, s8, v38
	v_add_co_ci_u32_e64 v2, null, s9, 0, s0
	s_waitcnt lgkmcnt(0)
	v_add_co_u32 v9, vcc_lo, 0x800, v1
	v_add_co_ci_u32_e32 v10, vcc_lo, 0, v2, vcc_lo
	s_barrier
	buffer_gl0_inv
	s_clause 0x2
	global_load_dwordx4 v[1:4], v38, s[8:9] offset:1440
	global_load_dwordx4 v[5:8], v38, s[8:9] offset:1952
	global_load_dwordx4 v[9:12], v[9:10], off offset:416
	ds_read_b128 v[13:16], v35 offset:1536
	ds_read_b128 v[17:20], v35 offset:2048
	;; [unrolled: 1-line block ×4, first 2 shown]
	ds_read_b128 v[29:32], v39
	ds_read_b128 v[38:41], v35 offset:512
	v_and_b32_e32 v49, 7, v0
	v_lshrrev_b32_e32 v48, 3, v0
	s_mul_i32 s7, s7, s18
	s_mul_hi_u32 s10, s6, s18
	s_mul_i32 s6, s6, s18
	s_add_i32 s7, s10, s7
	s_mul_i32 s3, s13, s20
	s_mul_hi_u32 s9, s12, s20
	s_lshl_b64 s[6:7], s[6:7], 4
	s_mul_i32 s8, s12, s20
	s_add_i32 s9, s9, s3
	s_add_u32 s3, s4, s6
	s_addc_u32 s6, s5, s7
	s_lshl_b64 s[4:5], s[8:9], 4
	v_mul_lo_u32 v33, v48, s2
	s_mul_i32 s0, s19, s14
	s_add_u32 s3, s3, s4
	s_addc_u32 s4, s6, s5
	s_lshl_b64 s[0:1], s[0:1], 4
	v_lshlrev_b32_e32 v51, 4, v48
	s_add_u32 s0, s3, s0
	s_addc_u32 s1, s4, s1
	s_lshl_b32 s2, s2, 5
	v_lshl_add_u32 v50, v36, 4, v37
	s_waitcnt vmcnt(0) lgkmcnt(0)
	s_barrier
	buffer_gl0_inv
	v_mul_f64 v[42:43], v[15:16], v[3:4]
	v_mul_f64 v[3:4], v[13:14], v[3:4]
	;; [unrolled: 1-line block ×6, first 2 shown]
	v_fma_f64 v[13:14], v[13:14], v[1:2], -v[42:43]
	v_fma_f64 v[2:3], v[15:16], v[1:2], v[3:4]
	v_fma_f64 v[15:16], v[17:18], v[5:6], -v[44:45]
	v_fma_f64 v[6:7], v[19:20], v[5:6], v[7:8]
	;; [unrolled: 2-line block ×3, first 2 shown]
	v_mad_u64_u32 v[19:20], null, s12, v49, 0
	v_mul_u32_u24_e32 v24, 0xc00, v49
	v_lshlrev_b64 v[42:43], 4, v[33:34]
	v_add_nc_u32_e32 v33, s2, v33
	v_mov_b32_e32 v12, v20
	v_lshlrev_b64 v[44:45], 4, v[33:34]
	v_add_nc_u32_e32 v33, s2, v33
	v_lshlrev_b64 v[36:37], 4, v[33:34]
	v_add_f64 v[0:1], v[29:30], -v[13:14]
	v_add_f64 v[2:3], v[31:32], -v[2:3]
	;; [unrolled: 1-line block ×6, first 2 shown]
	v_mad_u64_u32 v[12:13], null, s13, v49, v[12:13]
	v_add_nc_u32_e32 v33, s2, v33
	v_lshlrev_b64 v[46:47], 4, v[33:34]
	v_mov_b32_e32 v20, v12
	v_add_nc_u32_e32 v33, s2, v33
	v_lshlrev_b64 v[48:49], 4, v[19:20]
	v_fma_f64 v[12:13], v[29:30], 2.0, -v[0:1]
	v_fma_f64 v[14:15], v[31:32], 2.0, -v[2:3]
	;; [unrolled: 1-line block ×6, first 2 shown]
	v_add3_u32 v32, 0, v24, v51
	v_add_co_u32 v38, vcc_lo, s0, v48
	v_add_co_ci_u32_e32 v39, vcc_lo, s1, v49, vcc_lo
	v_lshlrev_b64 v[24:25], 4, v[33:34]
	v_add_co_u32 v28, vcc_lo, v38, v42
	v_add_co_ci_u32_e32 v29, vcc_lo, v39, v43, vcc_lo
	v_add_nc_u32_e32 v33, s2, v33
	v_add_co_u32 v30, vcc_lo, v38, v44
	ds_write_b128 v35, v[0:3] offset:1536
	ds_write_b128 v50, v[4:7] offset:2048
	;; [unrolled: 1-line block ×3, first 2 shown]
	ds_write_b128 v35, v[12:15]
	ds_write_b128 v35, v[16:19] offset:512
	ds_write_b128 v35, v[20:23] offset:1024
	s_waitcnt lgkmcnt(0)
	s_barrier
	buffer_gl0_inv
	ds_read_b128 v[0:3], v32
	ds_read_b128 v[4:7], v32 offset:512
	ds_read_b128 v[8:11], v32 offset:1024
	;; [unrolled: 1-line block ×5, first 2 shown]
	v_add_co_ci_u32_e32 v31, vcc_lo, v39, v45, vcc_lo
	v_add_co_u32 v32, vcc_lo, v38, v36
	v_lshlrev_b64 v[26:27], 4, v[33:34]
	v_add_co_ci_u32_e32 v33, vcc_lo, v39, v37, vcc_lo
	v_add_co_u32 v34, vcc_lo, v38, v46
	v_add_co_ci_u32_e32 v35, vcc_lo, v39, v47, vcc_lo
	v_add_co_u32 v24, vcc_lo, v38, v24
	;; [unrolled: 2-line block ×3, first 2 shown]
	v_add_co_ci_u32_e32 v27, vcc_lo, v39, v27, vcc_lo
	s_waitcnt lgkmcnt(5)
	global_store_dwordx4 v[28:29], v[0:3], off
	s_waitcnt lgkmcnt(4)
	global_store_dwordx4 v[30:31], v[4:7], off
	;; [unrolled: 2-line block ×6, first 2 shown]
	s_endpgm
	.section	.rodata,"a",@progbits
	.p2align	6, 0x0
	.amdhsa_kernel fft_rtc_fwd_len192_factors_6_4_4_2_wgs_256_tpt_32_dp_op_CI_CI_sbrc_z_xy_diag
		.amdhsa_group_segment_fixed_size 0
		.amdhsa_private_segment_fixed_size 0
		.amdhsa_kernarg_size 104
		.amdhsa_user_sgpr_count 6
		.amdhsa_user_sgpr_private_segment_buffer 1
		.amdhsa_user_sgpr_dispatch_ptr 0
		.amdhsa_user_sgpr_queue_ptr 0
		.amdhsa_user_sgpr_kernarg_segment_ptr 1
		.amdhsa_user_sgpr_dispatch_id 0
		.amdhsa_user_sgpr_flat_scratch_init 0
		.amdhsa_user_sgpr_private_segment_size 0
		.amdhsa_wavefront_size32 1
		.amdhsa_uses_dynamic_stack 0
		.amdhsa_system_sgpr_private_segment_wavefront_offset 0
		.amdhsa_system_sgpr_workgroup_id_x 1
		.amdhsa_system_sgpr_workgroup_id_y 0
		.amdhsa_system_sgpr_workgroup_id_z 0
		.amdhsa_system_sgpr_workgroup_info 0
		.amdhsa_system_vgpr_workitem_id 0
		.amdhsa_next_free_vgpr 64
		.amdhsa_next_free_sgpr 23
		.amdhsa_reserve_vcc 1
		.amdhsa_reserve_flat_scratch 0
		.amdhsa_float_round_mode_32 0
		.amdhsa_float_round_mode_16_64 0
		.amdhsa_float_denorm_mode_32 3
		.amdhsa_float_denorm_mode_16_64 3
		.amdhsa_dx10_clamp 1
		.amdhsa_ieee_mode 1
		.amdhsa_fp16_overflow 0
		.amdhsa_workgroup_processor_mode 1
		.amdhsa_memory_ordered 1
		.amdhsa_forward_progress 0
		.amdhsa_shared_vgpr_count 0
		.amdhsa_exception_fp_ieee_invalid_op 0
		.amdhsa_exception_fp_denorm_src 0
		.amdhsa_exception_fp_ieee_div_zero 0
		.amdhsa_exception_fp_ieee_overflow 0
		.amdhsa_exception_fp_ieee_underflow 0
		.amdhsa_exception_fp_ieee_inexact 0
		.amdhsa_exception_int_div_zero 0
	.end_amdhsa_kernel
	.text
.Lfunc_end0:
	.size	fft_rtc_fwd_len192_factors_6_4_4_2_wgs_256_tpt_32_dp_op_CI_CI_sbrc_z_xy_diag, .Lfunc_end0-fft_rtc_fwd_len192_factors_6_4_4_2_wgs_256_tpt_32_dp_op_CI_CI_sbrc_z_xy_diag
                                        ; -- End function
	.section	.AMDGPU.csdata,"",@progbits
; Kernel info:
; codeLenInByte = 4300
; NumSgprs: 25
; NumVgprs: 64
; ScratchSize: 0
; MemoryBound: 0
; FloatMode: 240
; IeeeMode: 1
; LDSByteSize: 0 bytes/workgroup (compile time only)
; SGPRBlocks: 3
; VGPRBlocks: 7
; NumSGPRsForWavesPerEU: 25
; NumVGPRsForWavesPerEU: 64
; Occupancy: 16
; WaveLimiterHint : 1
; COMPUTE_PGM_RSRC2:SCRATCH_EN: 0
; COMPUTE_PGM_RSRC2:USER_SGPR: 6
; COMPUTE_PGM_RSRC2:TRAP_HANDLER: 0
; COMPUTE_PGM_RSRC2:TGID_X_EN: 1
; COMPUTE_PGM_RSRC2:TGID_Y_EN: 0
; COMPUTE_PGM_RSRC2:TGID_Z_EN: 0
; COMPUTE_PGM_RSRC2:TIDIG_COMP_CNT: 0
	.text
	.p2alignl 6, 3214868480
	.fill 48, 4, 3214868480
	.type	__hip_cuid_5628faf3889fc1b,@object ; @__hip_cuid_5628faf3889fc1b
	.section	.bss,"aw",@nobits
	.globl	__hip_cuid_5628faf3889fc1b
__hip_cuid_5628faf3889fc1b:
	.byte	0                               ; 0x0
	.size	__hip_cuid_5628faf3889fc1b, 1

	.ident	"AMD clang version 19.0.0git (https://github.com/RadeonOpenCompute/llvm-project roc-6.4.0 25133 c7fe45cf4b819c5991fe208aaa96edf142730f1d)"
	.section	".note.GNU-stack","",@progbits
	.addrsig
	.addrsig_sym __hip_cuid_5628faf3889fc1b
	.amdgpu_metadata
---
amdhsa.kernels:
  - .args:
      - .actual_access:  read_only
        .address_space:  global
        .offset:         0
        .size:           8
        .value_kind:     global_buffer
      - .offset:         8
        .size:           8
        .value_kind:     by_value
      - .actual_access:  read_only
        .address_space:  global
        .offset:         16
        .size:           8
        .value_kind:     global_buffer
      - .actual_access:  read_only
        .address_space:  global
        .offset:         24
        .size:           8
        .value_kind:     global_buffer
      - .actual_access:  read_only
        .address_space:  global
        .offset:         32
        .size:           8
        .value_kind:     global_buffer
      - .offset:         40
        .size:           8
        .value_kind:     by_value
      - .actual_access:  read_only
        .address_space:  global
        .offset:         48
        .size:           8
        .value_kind:     global_buffer
      - .actual_access:  read_only
        .address_space:  global
        .offset:         56
        .size:           8
        .value_kind:     global_buffer
      - .offset:         64
        .size:           4
        .value_kind:     by_value
      - .actual_access:  read_only
        .address_space:  global
        .offset:         72
        .size:           8
        .value_kind:     global_buffer
      - .actual_access:  read_only
        .address_space:  global
        .offset:         80
        .size:           8
        .value_kind:     global_buffer
      - .actual_access:  read_only
        .address_space:  global
        .offset:         88
        .size:           8
        .value_kind:     global_buffer
      - .actual_access:  write_only
        .address_space:  global
        .offset:         96
        .size:           8
        .value_kind:     global_buffer
    .group_segment_fixed_size: 0
    .kernarg_segment_align: 8
    .kernarg_segment_size: 104
    .language:       OpenCL C
    .language_version:
      - 2
      - 0
    .max_flat_workgroup_size: 256
    .name:           fft_rtc_fwd_len192_factors_6_4_4_2_wgs_256_tpt_32_dp_op_CI_CI_sbrc_z_xy_diag
    .private_segment_fixed_size: 0
    .sgpr_count:     25
    .sgpr_spill_count: 0
    .symbol:         fft_rtc_fwd_len192_factors_6_4_4_2_wgs_256_tpt_32_dp_op_CI_CI_sbrc_z_xy_diag.kd
    .uniform_work_group_size: 1
    .uses_dynamic_stack: false
    .vgpr_count:     64
    .vgpr_spill_count: 0
    .wavefront_size: 32
    .workgroup_processor_mode: 1
amdhsa.target:   amdgcn-amd-amdhsa--gfx1030
amdhsa.version:
  - 1
  - 2
...

	.end_amdgpu_metadata
